;; amdgpu-corpus repo=ROCm/rocFFT kind=compiled arch=gfx1030 opt=O3
	.text
	.amdgcn_target "amdgcn-amd-amdhsa--gfx1030"
	.amdhsa_code_object_version 6
	.protected	fft_rtc_fwd_len260_factors_13_10_2_wgs_52_tpt_26_dp_op_CI_CI_unitstride_sbrr_C2R_dirReg ; -- Begin function fft_rtc_fwd_len260_factors_13_10_2_wgs_52_tpt_26_dp_op_CI_CI_unitstride_sbrr_C2R_dirReg
	.globl	fft_rtc_fwd_len260_factors_13_10_2_wgs_52_tpt_26_dp_op_CI_CI_unitstride_sbrr_C2R_dirReg
	.p2align	8
	.type	fft_rtc_fwd_len260_factors_13_10_2_wgs_52_tpt_26_dp_op_CI_CI_unitstride_sbrr_C2R_dirReg,@function
fft_rtc_fwd_len260_factors_13_10_2_wgs_52_tpt_26_dp_op_CI_CI_unitstride_sbrr_C2R_dirReg: ; @fft_rtc_fwd_len260_factors_13_10_2_wgs_52_tpt_26_dp_op_CI_CI_unitstride_sbrr_C2R_dirReg
; %bb.0:
	s_clause 0x2
	s_load_dwordx4 s[12:15], s[4:5], 0x0
	s_load_dwordx4 s[8:11], s[4:5], 0x58
	;; [unrolled: 1-line block ×3, first 2 shown]
	v_mul_u32_u24_e32 v1, 0x9d9, v0
	v_mov_b32_e32 v3, 0
	v_lshrrev_b32_e32 v7, 16, v1
	v_mov_b32_e32 v1, 0
	v_mov_b32_e32 v6, v3
	v_mov_b32_e32 v2, 0
	v_lshl_add_u32 v5, s6, 1, v7
	s_waitcnt lgkmcnt(0)
	v_cmp_lt_u64_e64 s0, s[14:15], 2
	s_and_b32 vcc_lo, exec_lo, s0
	s_cbranch_vccnz .LBB0_8
; %bb.1:
	s_load_dwordx2 s[0:1], s[4:5], 0x10
	v_mov_b32_e32 v1, 0
	v_mov_b32_e32 v2, 0
	s_add_u32 s2, s18, 8
	s_addc_u32 s3, s19, 0
	s_add_u32 s6, s16, 8
	s_addc_u32 s7, s17, 0
	v_mov_b32_e32 v53, v2
	v_mov_b32_e32 v52, v1
	s_mov_b64 s[22:23], 1
	s_waitcnt lgkmcnt(0)
	s_add_u32 s20, s0, 8
	s_addc_u32 s21, s1, 0
.LBB0_2:                                ; =>This Inner Loop Header: Depth=1
	s_load_dwordx2 s[24:25], s[20:21], 0x0
                                        ; implicit-def: $vgpr54_vgpr55
	s_mov_b32 s0, exec_lo
	s_waitcnt lgkmcnt(0)
	v_or_b32_e32 v4, s25, v6
	v_cmpx_ne_u64_e32 0, v[3:4]
	s_xor_b32 s1, exec_lo, s0
	s_cbranch_execz .LBB0_4
; %bb.3:                                ;   in Loop: Header=BB0_2 Depth=1
	v_cvt_f32_u32_e32 v4, s24
	v_cvt_f32_u32_e32 v8, s25
	s_sub_u32 s0, 0, s24
	s_subb_u32 s26, 0, s25
	v_fmac_f32_e32 v4, 0x4f800000, v8
	v_rcp_f32_e32 v4, v4
	v_mul_f32_e32 v4, 0x5f7ffffc, v4
	v_mul_f32_e32 v8, 0x2f800000, v4
	v_trunc_f32_e32 v8, v8
	v_fmac_f32_e32 v4, 0xcf800000, v8
	v_cvt_u32_f32_e32 v8, v8
	v_cvt_u32_f32_e32 v4, v4
	v_mul_lo_u32 v9, s0, v8
	v_mul_hi_u32 v10, s0, v4
	v_mul_lo_u32 v11, s26, v4
	v_add_nc_u32_e32 v9, v10, v9
	v_mul_lo_u32 v10, s0, v4
	v_add_nc_u32_e32 v9, v9, v11
	v_mul_hi_u32 v11, v4, v10
	v_mul_lo_u32 v12, v4, v9
	v_mul_hi_u32 v13, v4, v9
	v_mul_hi_u32 v14, v8, v10
	v_mul_lo_u32 v10, v8, v10
	v_mul_hi_u32 v15, v8, v9
	v_mul_lo_u32 v9, v8, v9
	v_add_co_u32 v11, vcc_lo, v11, v12
	v_add_co_ci_u32_e32 v12, vcc_lo, 0, v13, vcc_lo
	v_add_co_u32 v10, vcc_lo, v11, v10
	v_add_co_ci_u32_e32 v10, vcc_lo, v12, v14, vcc_lo
	v_add_co_ci_u32_e32 v11, vcc_lo, 0, v15, vcc_lo
	v_add_co_u32 v9, vcc_lo, v10, v9
	v_add_co_ci_u32_e32 v10, vcc_lo, 0, v11, vcc_lo
	v_add_co_u32 v4, vcc_lo, v4, v9
	v_add_co_ci_u32_e32 v8, vcc_lo, v8, v10, vcc_lo
	v_mul_hi_u32 v9, s0, v4
	v_mul_lo_u32 v11, s26, v4
	v_mul_lo_u32 v10, s0, v8
	v_add_nc_u32_e32 v9, v9, v10
	v_mul_lo_u32 v10, s0, v4
	v_add_nc_u32_e32 v9, v9, v11
	v_mul_hi_u32 v11, v4, v10
	v_mul_lo_u32 v12, v4, v9
	v_mul_hi_u32 v13, v4, v9
	v_mul_hi_u32 v14, v8, v10
	v_mul_lo_u32 v10, v8, v10
	v_mul_hi_u32 v15, v8, v9
	v_mul_lo_u32 v9, v8, v9
	v_add_co_u32 v11, vcc_lo, v11, v12
	v_add_co_ci_u32_e32 v12, vcc_lo, 0, v13, vcc_lo
	v_add_co_u32 v10, vcc_lo, v11, v10
	v_add_co_ci_u32_e32 v10, vcc_lo, v12, v14, vcc_lo
	v_add_co_ci_u32_e32 v11, vcc_lo, 0, v15, vcc_lo
	v_add_co_u32 v9, vcc_lo, v10, v9
	v_add_co_ci_u32_e32 v10, vcc_lo, 0, v11, vcc_lo
	v_add_co_u32 v4, vcc_lo, v4, v9
	v_add_co_ci_u32_e32 v12, vcc_lo, v8, v10, vcc_lo
	v_mul_hi_u32 v14, v5, v4
	v_mad_u64_u32 v[10:11], null, v6, v4, 0
	v_mad_u64_u32 v[8:9], null, v5, v12, 0
	v_mad_u64_u32 v[12:13], null, v6, v12, 0
	v_add_co_u32 v4, vcc_lo, v14, v8
	v_add_co_ci_u32_e32 v8, vcc_lo, 0, v9, vcc_lo
	v_add_co_u32 v4, vcc_lo, v4, v10
	v_add_co_ci_u32_e32 v4, vcc_lo, v8, v11, vcc_lo
	v_add_co_ci_u32_e32 v8, vcc_lo, 0, v13, vcc_lo
	v_add_co_u32 v4, vcc_lo, v4, v12
	v_add_co_ci_u32_e32 v10, vcc_lo, 0, v8, vcc_lo
	v_mul_lo_u32 v11, s25, v4
	v_mad_u64_u32 v[8:9], null, s24, v4, 0
	v_mul_lo_u32 v12, s24, v10
	v_sub_co_u32 v8, vcc_lo, v5, v8
	v_add3_u32 v9, v9, v12, v11
	v_sub_nc_u32_e32 v11, v6, v9
	v_subrev_co_ci_u32_e64 v11, s0, s25, v11, vcc_lo
	v_add_co_u32 v12, s0, v4, 2
	v_add_co_ci_u32_e64 v13, s0, 0, v10, s0
	v_sub_co_u32 v14, s0, v8, s24
	v_sub_co_ci_u32_e32 v9, vcc_lo, v6, v9, vcc_lo
	v_subrev_co_ci_u32_e64 v11, s0, 0, v11, s0
	v_cmp_le_u32_e32 vcc_lo, s24, v14
	v_cmp_eq_u32_e64 s0, s25, v9
	v_cndmask_b32_e64 v14, 0, -1, vcc_lo
	v_cmp_le_u32_e32 vcc_lo, s25, v11
	v_cndmask_b32_e64 v15, 0, -1, vcc_lo
	v_cmp_le_u32_e32 vcc_lo, s24, v8
	;; [unrolled: 2-line block ×3, first 2 shown]
	v_cndmask_b32_e64 v16, 0, -1, vcc_lo
	v_cmp_eq_u32_e32 vcc_lo, s25, v11
	v_cndmask_b32_e64 v8, v16, v8, s0
	v_cndmask_b32_e32 v11, v15, v14, vcc_lo
	v_add_co_u32 v14, vcc_lo, v4, 1
	v_add_co_ci_u32_e32 v15, vcc_lo, 0, v10, vcc_lo
	v_cmp_ne_u32_e32 vcc_lo, 0, v11
	v_cndmask_b32_e32 v9, v15, v13, vcc_lo
	v_cndmask_b32_e32 v11, v14, v12, vcc_lo
	v_cmp_ne_u32_e32 vcc_lo, 0, v8
	v_cndmask_b32_e32 v55, v10, v9, vcc_lo
	v_cndmask_b32_e32 v54, v4, v11, vcc_lo
.LBB0_4:                                ;   in Loop: Header=BB0_2 Depth=1
	s_andn2_saveexec_b32 s0, s1
	s_cbranch_execz .LBB0_6
; %bb.5:                                ;   in Loop: Header=BB0_2 Depth=1
	v_cvt_f32_u32_e32 v4, s24
	s_sub_i32 s1, 0, s24
	v_mov_b32_e32 v55, v3
	v_rcp_iflag_f32_e32 v4, v4
	v_mul_f32_e32 v4, 0x4f7ffffe, v4
	v_cvt_u32_f32_e32 v4, v4
	v_mul_lo_u32 v8, s1, v4
	v_mul_hi_u32 v8, v4, v8
	v_add_nc_u32_e32 v4, v4, v8
	v_mul_hi_u32 v4, v5, v4
	v_mul_lo_u32 v8, v4, s24
	v_add_nc_u32_e32 v9, 1, v4
	v_sub_nc_u32_e32 v8, v5, v8
	v_subrev_nc_u32_e32 v10, s24, v8
	v_cmp_le_u32_e32 vcc_lo, s24, v8
	v_cndmask_b32_e32 v8, v8, v10, vcc_lo
	v_cndmask_b32_e32 v4, v4, v9, vcc_lo
	v_cmp_le_u32_e32 vcc_lo, s24, v8
	v_add_nc_u32_e32 v9, 1, v4
	v_cndmask_b32_e32 v54, v4, v9, vcc_lo
.LBB0_6:                                ;   in Loop: Header=BB0_2 Depth=1
	s_or_b32 exec_lo, exec_lo, s0
	v_mul_lo_u32 v4, v55, s24
	v_mul_lo_u32 v10, v54, s25
	s_load_dwordx2 s[0:1], s[6:7], 0x0
	v_mad_u64_u32 v[8:9], null, v54, s24, 0
	s_load_dwordx2 s[24:25], s[2:3], 0x0
	s_add_u32 s22, s22, 1
	s_addc_u32 s23, s23, 0
	s_add_u32 s2, s2, 8
	s_addc_u32 s3, s3, 0
	s_add_u32 s6, s6, 8
	v_add3_u32 v4, v9, v10, v4
	v_sub_co_u32 v5, vcc_lo, v5, v8
	s_addc_u32 s7, s7, 0
	s_add_u32 s20, s20, 8
	v_sub_co_ci_u32_e32 v4, vcc_lo, v6, v4, vcc_lo
	s_addc_u32 s21, s21, 0
	s_waitcnt lgkmcnt(0)
	v_mul_lo_u32 v6, s0, v4
	v_mul_lo_u32 v8, s1, v5
	v_mad_u64_u32 v[1:2], null, s0, v5, v[1:2]
	v_mul_lo_u32 v4, s24, v4
	v_mul_lo_u32 v9, s25, v5
	v_mad_u64_u32 v[52:53], null, s24, v5, v[52:53]
	v_cmp_ge_u64_e64 s0, s[22:23], s[14:15]
	v_add3_u32 v2, v8, v2, v6
	v_add3_u32 v53, v9, v53, v4
	s_and_b32 vcc_lo, exec_lo, s0
	s_cbranch_vccnz .LBB0_9
; %bb.7:                                ;   in Loop: Header=BB0_2 Depth=1
	v_mov_b32_e32 v5, v54
	v_mov_b32_e32 v6, v55
	s_branch .LBB0_2
.LBB0_8:
	v_mov_b32_e32 v53, v2
	v_mov_b32_e32 v55, v6
	;; [unrolled: 1-line block ×4, first 2 shown]
.LBB0_9:
	s_load_dwordx2 s[0:1], s[4:5], 0x28
	v_and_b32_e32 v4, 1, v7
	v_mul_hi_u32 v3, 0x9d89d8a, v0
	s_lshl_b64 s[4:5], s[14:15], 3
                                        ; implicit-def: $vgpr56
	s_add_u32 s2, s18, s4
	s_addc_u32 s3, s19, s5
	s_waitcnt lgkmcnt(0)
	v_cmp_gt_u64_e32 vcc_lo, s[0:1], v[54:55]
	v_cmp_le_u64_e64 s1, s[0:1], v[54:55]
	v_cmp_eq_u32_e64 s0, 1, v4
                                        ; implicit-def: $vgpr4_vgpr5
	s_and_saveexec_b32 s6, s1
	s_xor_b32 s1, exec_lo, s6
; %bb.10:
	v_mul_u32_u24_e32 v1, 26, v3
	v_mov_b32_e32 v57, 0
                                        ; implicit-def: $vgpr3
	v_sub_nc_u32_e32 v56, v0, v1
                                        ; implicit-def: $vgpr0
                                        ; implicit-def: $vgpr1_vgpr2
	v_mov_b32_e32 v4, v56
	v_mov_b32_e32 v5, v57
; %bb.11:
	s_or_saveexec_b32 s1, s1
	s_load_dwordx2 s[2:3], s[2:3], 0x0
	v_cndmask_b32_e64 v6, 0, 0x105, s0
	v_lshlrev_b32_e32 v96, 4, v6
	s_xor_b32 exec_lo, exec_lo, s1
	s_cbranch_execz .LBB0_15
; %bb.12:
	s_add_u32 s4, s16, s4
	s_addc_u32 s5, s17, s5
	v_lshlrev_b64 v[1:2], 4, v[1:2]
	s_load_dwordx2 s[4:5], s[4:5], 0x0
	v_mov_b32_e32 v57, 0
	s_waitcnt lgkmcnt(0)
	v_mul_lo_u32 v7, s5, v54
	v_mul_lo_u32 v8, s4, v55
	v_mad_u64_u32 v[4:5], null, s4, v54, 0
	s_mov_b32 s4, exec_lo
	v_add3_u32 v5, v5, v8, v7
	v_mul_u32_u24_e32 v7, 26, v3
	v_lshlrev_b64 v[3:4], 4, v[4:5]
	v_sub_nc_u32_e32 v56, v0, v7
	v_lshlrev_b32_e32 v47, 4, v56
	v_add_co_u32 v0, s0, s8, v3
	v_add_co_ci_u32_e64 v3, s0, s9, v4, s0
	v_add_co_u32 v0, s0, v0, v1
	v_add_co_ci_u32_e64 v1, s0, v3, v2, s0
	;; [unrolled: 2-line block ×4, first 2 shown]
	s_clause 0x9
	global_load_dwordx4 v[7:10], v[2:3], off
	global_load_dwordx4 v[11:14], v[2:3], off offset:416
	global_load_dwordx4 v[15:18], v[2:3], off offset:832
	global_load_dwordx4 v[19:22], v[2:3], off offset:1248
	global_load_dwordx4 v[23:26], v[2:3], off offset:1664
	global_load_dwordx4 v[27:30], v[4:5], off offset:32
	global_load_dwordx4 v[31:34], v[4:5], off offset:448
	global_load_dwordx4 v[35:38], v[4:5], off offset:864
	global_load_dwordx4 v[39:42], v[4:5], off offset:1280
	global_load_dwordx4 v[43:46], v[4:5], off offset:1696
	v_mov_b32_e32 v4, v56
	v_add3_u32 v2, 0, v96, v47
	v_mov_b32_e32 v5, v57
	s_waitcnt vmcnt(9)
	ds_write_b128 v2, v[7:10]
	s_waitcnt vmcnt(8)
	ds_write_b128 v2, v[11:14] offset:416
	s_waitcnt vmcnt(7)
	ds_write_b128 v2, v[15:18] offset:832
	s_waitcnt vmcnt(6)
	ds_write_b128 v2, v[19:22] offset:1248
	s_waitcnt vmcnt(5)
	ds_write_b128 v2, v[23:26] offset:1664
	s_waitcnt vmcnt(4)
	ds_write_b128 v2, v[27:30] offset:2080
	s_waitcnt vmcnt(3)
	ds_write_b128 v2, v[31:34] offset:2496
	s_waitcnt vmcnt(2)
	ds_write_b128 v2, v[35:38] offset:2912
	s_waitcnt vmcnt(1)
	ds_write_b128 v2, v[39:42] offset:3328
	s_waitcnt vmcnt(0)
	ds_write_b128 v2, v[43:46] offset:3744
	v_cmpx_eq_u32_e32 25, v56
	s_cbranch_execz .LBB0_14
; %bb.13:
	v_add_co_u32 v0, s0, 0x1000, v0
	v_add_co_ci_u32_e64 v1, s0, 0, v1, s0
	v_mov_b32_e32 v4, 25
	v_mov_b32_e32 v5, 0
	;; [unrolled: 1-line block ×3, first 2 shown]
	global_load_dwordx4 v[7:10], v[0:1], off offset:64
	s_waitcnt vmcnt(0)
	ds_write_b128 v2, v[7:10] offset:3760
.LBB0_14:
	s_or_b32 exec_lo, exec_lo, s4
.LBB0_15:
	s_or_b32 exec_lo, exec_lo, s1
	v_lshl_add_u32 v97, v6, 4, 0
	v_lshlrev_b32_e32 v0, 4, v56
	s_waitcnt lgkmcnt(0)
	s_barrier
	buffer_gl0_inv
	v_lshlrev_b64 v[58:59], 4, v[4:5]
	v_add_nc_u32_e32 v98, v97, v0
	v_sub_nc_u32_e32 v7, v97, v0
	s_add_u32 s1, s12, 0xf70
	s_addc_u32 s4, s13, 0
	ds_read_b64 v[2:3], v98
	ds_read_b64 v[8:9], v7 offset:4160
	s_mov_b32 s5, exec_lo
	s_waitcnt lgkmcnt(0)
	v_add_f64 v[0:1], v[2:3], v[8:9]
	v_add_f64 v[2:3], v[2:3], -v[8:9]
	v_cmpx_ne_u32_e32 0, v56
	s_xor_b32 s5, exec_lo, s5
	s_cbranch_execz .LBB0_17
; %bb.16:
	v_add_co_u32 v4, s0, s1, v58
	v_add_co_ci_u32_e64 v5, s0, s4, v59, s0
	global_load_dwordx4 v[8:11], v[4:5], off
	ds_read_b64 v[4:5], v7 offset:4168
	ds_read_b64 v[12:13], v98 offset:8
	s_waitcnt lgkmcnt(0)
	v_add_f64 v[14:15], v[4:5], v[12:13]
	v_add_f64 v[4:5], v[12:13], -v[4:5]
	s_waitcnt vmcnt(0)
	v_fma_f64 v[12:13], v[2:3], v[10:11], v[0:1]
	v_fma_f64 v[16:17], v[14:15], v[10:11], v[4:5]
	v_fma_f64 v[0:1], -v[2:3], v[10:11], v[0:1]
	v_fma_f64 v[4:5], v[14:15], v[10:11], -v[4:5]
	v_fma_f64 v[10:11], -v[14:15], v[8:9], v[12:13]
	v_fma_f64 v[12:13], v[2:3], v[8:9], v[16:17]
	v_fma_f64 v[0:1], v[14:15], v[8:9], v[0:1]
	;; [unrolled: 1-line block ×3, first 2 shown]
	ds_write_b128 v98, v[10:13]
	ds_write_b128 v7, v[0:3] offset:4160
                                        ; implicit-def: $vgpr0_vgpr1
.LBB0_17:
	s_andn2_saveexec_b32 s0, s5
	s_cbranch_execz .LBB0_19
; %bb.18:
	ds_write_b128 v98, v[0:3]
	ds_read_b128 v[0:3], v97 offset:2080
	s_waitcnt lgkmcnt(0)
	v_add_f64 v[0:1], v[0:1], v[0:1]
	v_mul_f64 v[2:3], v[2:3], -2.0
	ds_write_b128 v97, v[0:3] offset:2080
.LBB0_19:
	s_or_b32 exec_lo, exec_lo, s0
	v_mov_b32_e32 v57, 0
	v_lshl_add_u32 v100, v56, 4, 0
	s_mov_b32 s33, exec_lo
	v_lshlrev_b64 v[60:61], 4, v[56:57]
	v_lshl_add_u32 v99, v6, 4, v100
	v_add_co_u32 v4, s0, s1, v60
	v_add_co_ci_u32_e64 v5, s0, s4, v61, s0
	s_clause 0x2
	global_load_dwordx4 v[0:3], v[4:5], off offset:416
	global_load_dwordx4 v[8:11], v[4:5], off offset:832
	;; [unrolled: 1-line block ×3, first 2 shown]
	ds_read_b128 v[16:19], v98 offset:416
	ds_read_b128 v[20:23], v7 offset:3744
	global_load_dwordx4 v[24:27], v[4:5], off offset:1664
	s_waitcnt lgkmcnt(0)
	v_add_f64 v[4:5], v[16:17], v[20:21]
	v_add_f64 v[28:29], v[22:23], v[18:19]
	v_add_f64 v[20:21], v[16:17], -v[20:21]
	v_add_f64 v[16:17], v[18:19], -v[22:23]
	s_waitcnt vmcnt(3)
	v_fma_f64 v[18:19], v[20:21], v[2:3], v[4:5]
	v_fma_f64 v[22:23], v[28:29], v[2:3], v[16:17]
	v_fma_f64 v[30:31], -v[20:21], v[2:3], v[4:5]
	v_fma_f64 v[32:33], v[28:29], v[2:3], -v[16:17]
	v_fma_f64 v[2:3], -v[28:29], v[0:1], v[18:19]
	v_fma_f64 v[4:5], v[20:21], v[0:1], v[22:23]
	v_fma_f64 v[16:17], v[28:29], v[0:1], v[30:31]
	v_fma_f64 v[18:19], v[20:21], v[0:1], v[32:33]
	ds_write_b128 v98, v[2:5] offset:416
	ds_write_b128 v7, v[16:19] offset:3744
	ds_read_b128 v[0:3], v98 offset:832
	ds_read_b128 v[16:19], v7 offset:3328
	s_waitcnt lgkmcnt(0)
	v_add_f64 v[4:5], v[0:1], v[16:17]
	v_add_f64 v[20:21], v[18:19], v[2:3]
	v_add_f64 v[22:23], v[0:1], -v[16:17]
	v_add_f64 v[0:1], v[2:3], -v[18:19]
	s_waitcnt vmcnt(2)
	v_fma_f64 v[2:3], v[22:23], v[10:11], v[4:5]
	v_fma_f64 v[16:17], v[20:21], v[10:11], v[0:1]
	v_fma_f64 v[4:5], -v[22:23], v[10:11], v[4:5]
	v_fma_f64 v[10:11], v[20:21], v[10:11], -v[0:1]
	v_fma_f64 v[0:1], -v[20:21], v[8:9], v[2:3]
	v_fma_f64 v[2:3], v[22:23], v[8:9], v[16:17]
	v_fma_f64 v[16:17], v[20:21], v[8:9], v[4:5]
	v_fma_f64 v[18:19], v[22:23], v[8:9], v[10:11]
	ds_write_b128 v98, v[0:3] offset:832
	ds_write_b128 v7, v[16:19] offset:3328
	ds_read_b128 v[0:3], v98 offset:1248
	ds_read_b128 v[8:11], v7 offset:2912
	;; [unrolled: 18-line block ×3, first 2 shown]
	s_waitcnt lgkmcnt(0)
	v_add_f64 v[4:5], v[0:1], v[8:9]
	v_add_f64 v[12:13], v[10:11], v[2:3]
	v_add_f64 v[14:15], v[0:1], -v[8:9]
	v_add_f64 v[0:1], v[2:3], -v[10:11]
	s_waitcnt vmcnt(0)
	v_fma_f64 v[2:3], v[14:15], v[26:27], v[4:5]
	v_fma_f64 v[8:9], v[12:13], v[26:27], v[0:1]
	v_fma_f64 v[4:5], -v[14:15], v[26:27], v[4:5]
	v_fma_f64 v[10:11], v[12:13], v[26:27], -v[0:1]
	v_fma_f64 v[0:1], -v[12:13], v[24:25], v[2:3]
	v_fma_f64 v[2:3], v[14:15], v[24:25], v[8:9]
	v_fma_f64 v[8:9], v[12:13], v[24:25], v[4:5]
	;; [unrolled: 1-line block ×3, first 2 shown]
	ds_write_b128 v98, v[0:3] offset:1664
	ds_write_b128 v7, v[8:11] offset:2496
	s_waitcnt lgkmcnt(0)
	s_barrier
	buffer_gl0_inv
	s_barrier
	buffer_gl0_inv
	ds_read_b128 v[0:3], v98
	ds_read_b128 v[44:47], v99 offset:320
	ds_read_b128 v[36:39], v99 offset:640
	;; [unrolled: 1-line block ×12, first 2 shown]
	s_waitcnt lgkmcnt(0)
	s_barrier
	buffer_gl0_inv
	v_cmpx_gt_u32_e32 20, v56
	s_cbranch_execz .LBB0_21
; %bb.20:
	v_add_f64 v[62:63], v[2:3], v[46:47]
	v_add_f64 v[64:65], v[0:1], v[44:45]
	;; [unrolled: 1-line block ×3, first 2 shown]
	v_add_f64 v[84:85], v[42:43], -v[18:19]
	v_add_f64 v[72:73], v[40:41], -v[16:17]
	v_add_f64 v[76:77], v[34:35], v[22:23]
	v_add_f64 v[94:95], v[46:47], -v[6:7]
	v_add_f64 v[101:102], v[46:47], v[6:7]
	s_mov_b32 s4, 0x4bc48dbf
	s_mov_b32 s5, 0x3fcea1e5
	;; [unrolled: 1-line block ×4, first 2 shown]
	v_add_f64 v[86:87], v[44:45], -v[4:5]
	v_add_f64 v[90:91], v[38:39], -v[10:11]
	v_add_f64 v[44:45], v[44:45], v[4:5]
	s_mov_b32 s0, 0x93053d00
	s_mov_b32 s1, 0xbfef11f4
	v_add_f64 v[92:93], v[38:39], v[10:11]
	s_mov_b32 s8, 0x4267c47c
	s_mov_b32 s16, 0xd0032e0c
	;; [unrolled: 1-line block ×4, first 2 shown]
	v_add_f64 v[74:75], v[62:63], v[38:39]
	v_add_f64 v[78:79], v[64:65], v[36:37]
	s_mov_b32 s9, 0xbfddbe06
	s_mov_b32 s23, 0x3fddbe06
	;; [unrolled: 1-line block ×8, first 2 shown]
	v_add_f64 v[70:71], v[30:31], v[26:27]
	v_add_f64 v[68:69], v[30:31], -v[26:27]
	v_add_f64 v[88:89], v[50:51], v[14:15]
	v_add_f64 v[38:39], v[36:37], -v[8:9]
	v_add_f64 v[36:37], v[36:37], v[8:9]
	v_mul_f64 v[107:108], v[90:91], s[22:23]
	v_mul_f64 v[125:126], v[101:102], s[16:17]
	v_mul_f64 v[127:128], v[94:95], s[28:29]
	v_mul_f64 v[137:138], v[101:102], s[34:35]
	s_mov_b32 s6, 0xe00740e9
	s_mov_b32 s7, 0x3fec55a7
	v_add_f64 v[62:63], v[28:29], -v[24:25]
	v_add_f64 v[103:104], v[74:75], v[50:51]
	v_add_f64 v[105:106], v[78:79], v[48:49]
	;; [unrolled: 1-line block ×3, first 2 shown]
	v_add_f64 v[78:79], v[34:35], -v[22:23]
	v_add_f64 v[50:51], v[50:51], -v[14:15]
	v_add_f64 v[64:65], v[28:29], v[24:25]
	s_mov_b32 s36, 0x66966769
	s_mov_b32 s37, 0xbfefc445
	;; [unrolled: 1-line block ×4, first 2 shown]
	v_add_f64 v[80:81], v[48:49], -v[12:13]
	v_add_f64 v[48:49], v[48:49], v[12:13]
	v_mul_f64 v[129:130], v[92:93], s[34:35]
	v_mul_f64 v[131:132], v[90:91], s[42:43]
	;; [unrolled: 1-line block ×3, first 2 shown]
	v_fma_f64 v[183:184], v[36:37], s[6:7], v[107:108]
	v_fma_f64 v[179:180], v[86:87], s[18:19], v[125:126]
	;; [unrolled: 1-line block ×4, first 2 shown]
	v_fma_f64 v[127:128], v[44:45], s[16:17], -v[127:128]
	v_add_f64 v[66:67], v[32:33], -v[20:21]
	v_add_f64 v[46:47], v[32:33], v[20:21]
	v_add_f64 v[42:43], v[103:104], v[42:43]
	;; [unrolled: 1-line block ×3, first 2 shown]
	v_mul_f64 v[103:104], v[94:95], s[14:15]
	v_mul_f64 v[105:106], v[92:93], s[6:7]
	;; [unrolled: 1-line block ×5, first 2 shown]
	s_mov_b32 s20, 0x1ea71119
	s_mov_b32 s24, 0x42a4c3d2
	;; [unrolled: 1-line block ×8, first 2 shown]
	v_mul_f64 v[133:134], v[88:89], s[20:21]
	v_mul_f64 v[115:116], v[84:85], s[26:27]
	;; [unrolled: 1-line block ×3, first 2 shown]
	v_fma_f64 v[107:108], v[36:37], s[6:7], -v[107:108]
	v_fma_f64 v[189:190], v[38:39], s[36:37], v[129:130]
	v_fma_f64 v[191:192], v[36:37], s[34:35], v[131:132]
	;; [unrolled: 1-line block ×3, first 2 shown]
	v_add_f64 v[34:35], v[42:43], v[34:35]
	v_add_f64 v[40:41], v[40:41], v[32:33]
	v_mul_f64 v[42:43], v[101:102], s[0:1]
	v_fma_f64 v[171:172], v[44:45], s[0:1], v[103:104]
	v_fma_f64 v[103:104], v[44:45], s[0:1], -v[103:104]
	v_fma_f64 v[131:132], v[36:37], s[34:35], -v[131:132]
	v_fma_f64 v[193:194], v[38:39], s[14:15], v[147:148]
	v_add_f64 v[179:180], v[2:3], v[179:180]
	v_add_f64 v[181:182], v[0:1], v[181:182]
	;; [unrolled: 1-line block ×3, first 2 shown]
	v_mul_f64 v[113:114], v[82:83], s[20:21]
	v_mul_f64 v[149:150], v[90:91], s[14:15]
	v_fma_f64 v[185:186], v[44:45], s[34:35], -v[141:142]
	s_mov_b32 s38, 0x2ef20147
	s_mov_b32 s39, 0x3fedeba7
	;; [unrolled: 1-line block ×4, first 2 shown]
	v_mul_f64 v[139:140], v[82:83], s[0:1]
	v_mul_f64 v[119:120], v[78:79], s[40:41]
	;; [unrolled: 1-line block ×5, first 2 shown]
	v_add_f64 v[121:122], v[34:35], v[30:31]
	v_add_f64 v[123:124], v[40:41], v[28:29]
	v_fma_f64 v[167:168], v[86:87], s[4:5], v[42:43]
	v_fma_f64 v[42:43], v[86:87], s[14:15], v[42:43]
	v_add_f64 v[171:172], v[0:1], v[171:172]
	v_mul_f64 v[34:35], v[88:89], s[30:31]
	v_add_f64 v[103:104], v[0:1], v[103:104]
	v_add_f64 v[179:180], v[189:190], v[179:180]
	;; [unrolled: 1-line block ×4, first 2 shown]
	v_mul_f64 v[117:118], v[76:77], s[30:31]
	v_mul_f64 v[163:164], v[94:95], s[24:25]
	;; [unrolled: 1-line block ×3, first 2 shown]
	v_fma_f64 v[195:196], v[36:37], s[0:1], -v[149:150]
	v_add_f64 v[185:186], v[0:1], v[185:186]
	v_fma_f64 v[191:192], v[72:73], s[24:25], v[113:114]
	v_fma_f64 v[113:114], v[72:73], s[26:27], v[113:114]
	v_mul_f64 v[143:144], v[101:102], s[20:21]
	v_mul_f64 v[155:156], v[78:79], s[22:23]
	;; [unrolled: 1-line block ×4, first 2 shown]
	v_fma_f64 v[131:132], v[72:73], s[14:15], v[139:140]
	v_add_f64 v[26:27], v[121:122], v[26:27]
	v_add_f64 v[24:25], v[123:124], v[24:25]
	;; [unrolled: 1-line block ×5, first 2 shown]
	v_mul_f64 v[121:122], v[82:83], s[6:7]
	v_fma_f64 v[183:184], v[48:49], s[20:21], v[135:136]
	v_add_f64 v[103:104], v[107:108], v[103:104]
	v_fma_f64 v[139:140], v[72:73], s[4:5], v[139:140]
	v_mul_f64 v[32:33], v[70:71], s[34:35]
	v_mul_f64 v[28:29], v[68:69], s[42:43]
	;; [unrolled: 1-line block ×8, first 2 shown]
	v_fma_f64 v[187:188], v[86:87], s[24:25], v[143:144]
	v_mul_f64 v[40:41], v[88:89], s[0:1]
	v_mul_f64 v[123:124], v[84:85], s[22:23]
	;; [unrolled: 1-line block ×4, first 2 shown]
	v_add_f64 v[22:23], v[26:27], v[22:23]
	v_fma_f64 v[26:27], v[86:87], s[36:37], v[137:138]
	v_add_f64 v[20:21], v[24:25], v[20:21]
	v_fma_f64 v[24:25], v[38:39], s[8:9], v[105:106]
	v_fma_f64 v[105:106], v[38:39], s[22:23], v[105:106]
	v_mul_f64 v[161:162], v[82:83], s[16:17]
	v_fma_f64 v[137:138], v[86:87], s[42:43], v[137:138]
	v_fma_f64 v[107:108], v[48:49], s[30:31], -v[30:31]
	v_fma_f64 v[197:198], v[38:39], s[40:41], v[151:152]
	v_fma_f64 v[30:31], v[48:49], s[30:31], v[30:31]
	v_add_f64 v[187:188], v[2:3], v[187:188]
	v_fma_f64 v[189:190], v[80:81], s[14:15], v[40:41]
	v_fma_f64 v[40:41], v[80:81], s[4:5], v[40:41]
	v_add_f64 v[18:19], v[22:23], v[18:19]
	v_add_f64 v[22:23], v[2:3], v[125:126]
	v_fma_f64 v[125:126], v[48:49], s[16:17], v[111:112]
	v_add_f64 v[26:27], v[2:3], v[26:27]
	v_add_f64 v[16:17], v[20:21], v[16:17]
	v_fma_f64 v[20:21], v[80:81], s[18:19], v[109:110]
	v_fma_f64 v[109:110], v[80:81], s[28:29], v[109:110]
	v_add_f64 v[24:25], v[24:25], v[167:168]
	v_add_f64 v[42:43], v[105:106], v[42:43]
	v_fma_f64 v[111:112], v[48:49], s[16:17], -v[111:112]
	v_fma_f64 v[167:168], v[80:81], s[26:27], v[133:134]
	v_fma_f64 v[133:134], v[80:81], s[24:25], v[133:134]
	v_fma_f64 v[105:106], v[48:49], s[20:21], -v[135:136]
	v_fma_f64 v[135:136], v[80:81], s[38:39], v[34:35]
	v_add_f64 v[137:138], v[2:3], v[137:138]
	v_fma_f64 v[34:35], v[80:81], s[40:41], v[34:35]
	v_add_f64 v[187:188], v[197:198], v[187:188]
	v_add_f64 v[14:15], v[18:19], v[14:15]
	;; [unrolled: 1-line block ×3, first 2 shown]
	v_fma_f64 v[129:130], v[74:75], s[20:21], v[115:116]
	v_add_f64 v[26:27], v[193:194], v[26:27]
	v_add_f64 v[125:126], v[125:126], v[171:172]
	v_fma_f64 v[193:194], v[46:47], s[30:31], v[119:120]
	v_add_f64 v[12:13], v[16:17], v[12:13]
	v_add_f64 v[20:21], v[20:21], v[24:25]
	v_add_f64 v[42:43], v[109:110], v[42:43]
	v_fma_f64 v[24:25], v[74:75], s[0:1], v[145:146]
	v_fma_f64 v[109:110], v[74:75], s[0:1], -v[145:146]
	v_fma_f64 v[145:146], v[72:73], s[22:23], v[121:122]
	v_add_f64 v[103:104], v[111:112], v[103:104]
	v_add_f64 v[111:112], v[167:168], v[179:180]
	;; [unrolled: 1-line block ×4, first 2 shown]
	v_fma_f64 v[18:19], v[46:47], s[30:31], -v[119:120]
	v_fma_f64 v[115:116], v[74:75], s[20:21], -v[115:116]
	v_add_f64 v[171:172], v[195:196], v[185:186]
	v_fma_f64 v[185:186], v[66:67], s[38:39], v[117:118]
	v_fma_f64 v[117:118], v[66:67], s[40:41], v[117:118]
	v_fma_f64 v[127:128], v[44:45], s[20:21], -v[163:164]
	v_add_f64 v[14:15], v[14:15], v[10:11]
	v_add_f64 v[22:23], v[133:134], v[22:23]
	v_fma_f64 v[133:134], v[86:87], s[8:9], v[169:170]
	v_add_f64 v[16:17], v[135:136], v[26:27]
	v_fma_f64 v[26:27], v[66:67], s[8:9], v[153:154]
	;; [unrolled: 2-line block ×3, first 2 shown]
	v_fma_f64 v[153:154], v[44:45], s[6:7], -v[173:174]
	v_add_f64 v[20:21], v[191:192], v[20:21]
	v_add_f64 v[42:43], v[113:114], v[42:43]
	v_fma_f64 v[125:126], v[46:47], s[6:7], v[155:156]
	v_fma_f64 v[135:136], v[46:47], s[6:7], -v[155:156]
	v_add_f64 v[12:13], v[12:13], v[8:9]
	v_fma_f64 v[113:114], v[62:63], s[36:37], v[32:33]
	v_add_f64 v[24:25], v[24:25], v[167:168]
	v_add_f64 v[105:106], v[109:110], v[105:106]
	v_fma_f64 v[167:168], v[86:87], s[38:39], v[101:102]
	v_fma_f64 v[101:102], v[86:87], s[40:41], v[101:102]
	v_add_f64 v[103:104], v[115:116], v[103:104]
	v_add_f64 v[111:112], v[131:132], v[111:112]
	v_fma_f64 v[109:110], v[64:65], s[34:35], v[28:29]
	v_fma_f64 v[115:116], v[36:37], s[30:31], -v[165:166]
	v_fma_f64 v[131:132], v[38:39], s[24:25], v[175:176]
	v_add_f64 v[22:23], v[139:140], v[22:23]
	v_add_f64 v[107:108], v[107:108], v[171:172]
	;; [unrolled: 1-line block ×3, first 2 shown]
	v_fma_f64 v[145:146], v[36:37], s[20:21], -v[177:178]
	v_mul_f64 v[16:17], v[94:95], s[40:41]
	v_add_f64 v[94:95], v[193:194], v[119:120]
	v_add_f64 v[139:140], v[0:1], v[153:154]
	;; [unrolled: 1-line block ×3, first 2 shown]
	v_fma_f64 v[20:21], v[66:67], s[24:25], v[157:158]
	v_add_f64 v[42:43], v[117:118], v[42:43]
	v_add_f64 v[117:118], v[0:1], v[127:128]
	v_mul_f64 v[119:120], v[50:51], s[14:15]
	v_add_f64 v[127:128], v[2:3], v[133:134]
	v_mul_f64 v[133:134], v[88:89], s[34:35]
	v_mul_f64 v[153:154], v[50:51], s[36:37]
	v_add_f64 v[24:25], v[125:126], v[24:25]
	v_add_f64 v[105:106], v[135:136], v[105:106]
	;; [unrolled: 1-line block ×3, first 2 shown]
	v_mul_f64 v[88:89], v[88:89], s[6:7]
	v_add_f64 v[101:102], v[2:3], v[101:102]
	v_fma_f64 v[195:196], v[74:75], s[6:7], -v[123:124]
	v_add_f64 v[6:7], v[14:15], v[6:7]
	v_add_f64 v[22:23], v[129:130], v[22:23]
	v_mul_f64 v[129:130], v[82:83], s[30:31]
	v_fma_f64 v[14:15], v[44:45], s[34:35], v[141:142]
	v_fma_f64 v[141:142], v[86:87], s[26:27], v[143:144]
	;; [unrolled: 1-line block ×3, first 2 shown]
	v_fma_f64 v[16:17], v[44:45], s[30:31], -v[16:17]
	v_add_f64 v[125:126], v[145:146], v[139:140]
	v_fma_f64 v[139:140], v[38:39], s[28:29], v[92:93]
	v_fma_f64 v[92:93], v[38:39], s[18:19], v[92:93]
	v_add_f64 v[20:21], v[20:21], v[8:9]
	v_add_f64 v[10:11], v[113:114], v[10:11]
	v_add_f64 v[8:9], v[109:110], v[94:95]
	v_add_f64 v[94:95], v[115:116], v[117:118]
	v_fma_f64 v[109:110], v[48:49], s[0:1], -v[119:120]
	v_mul_f64 v[113:114], v[84:85], s[18:19]
	v_add_f64 v[115:116], v[131:132], v[127:128]
	v_fma_f64 v[117:118], v[80:81], s[36:37], v[133:134]
	v_fma_f64 v[127:128], v[48:49], s[34:35], -v[153:154]
	v_mul_f64 v[131:132], v[84:85], s[40:41]
	v_fma_f64 v[143:144], v[44:45], s[20:21], v[163:164]
	v_add_f64 v[4:5], v[12:13], v[4:5]
	v_fma_f64 v[86:87], v[86:87], s[22:23], v[169:170]
	v_fma_f64 v[44:45], v[44:45], s[6:7], v[173:174]
	;; [unrolled: 1-line block ×3, first 2 shown]
	v_mul_f64 v[50:51], v[50:51], s[22:23]
	v_fma_f64 v[90:91], v[36:37], s[16:17], -v[90:91]
	v_add_f64 v[155:156], v[189:190], v[187:188]
	v_add_f64 v[16:17], v[0:1], v[16:17]
	;; [unrolled: 1-line block ×4, first 2 shown]
	v_fma_f64 v[135:136], v[80:81], s[8:9], v[88:89]
	v_add_f64 v[92:93], v[92:93], v[101:102]
	v_fma_f64 v[88:89], v[80:81], s[22:23], v[88:89]
	v_add_f64 v[18:19], v[18:19], v[103:104]
	v_fma_f64 v[103:104], v[46:47], s[20:21], -v[159:160]
	v_add_f64 v[94:95], v[109:110], v[94:95]
	v_add_f64 v[26:27], v[26:27], v[111:112]
	v_fma_f64 v[111:112], v[72:73], s[18:19], v[161:162]
	v_add_f64 v[109:110], v[117:118], v[115:116]
	v_fma_f64 v[115:116], v[74:75], s[16:17], -v[113:114]
	v_add_f64 v[117:118], v[127:128], v[125:126]
	v_fma_f64 v[125:126], v[72:73], s[40:41], v[129:130]
	v_fma_f64 v[127:128], v[74:75], s[30:31], -v[131:132]
	v_add_f64 v[145:146], v[0:1], v[171:172]
	v_add_f64 v[101:102], v[2:3], v[141:142]
	;; [unrolled: 1-line block ×6, first 2 shown]
	v_fma_f64 v[139:140], v[48:49], s[6:7], v[50:51]
	v_add_f64 v[16:17], v[90:91], v[16:17]
	v_fma_f64 v[50:51], v[48:49], s[6:7], -v[50:51]
	v_add_f64 v[12:13], v[135:136], v[12:13]
	v_fma_f64 v[135:136], v[38:39], s[38:39], v[151:152]
	v_add_f64 v[88:89], v[88:89], v[92:93]
	v_fma_f64 v[92:93], v[36:37], s[30:31], v[165:166]
	v_add_f64 v[103:104], v[103:104], v[107:108]
	v_mul_f64 v[82:83], v[82:83], s[34:35]
	v_mul_f64 v[84:85], v[84:85], s[36:37]
	v_add_f64 v[107:108], v[111:112], v[155:156]
	v_fma_f64 v[119:120], v[48:49], s[0:1], v[119:120]
	v_add_f64 v[86:87], v[115:116], v[94:95]
	v_fma_f64 v[115:116], v[38:39], s[4:5], v[147:148]
	v_add_f64 v[94:95], v[125:126], v[109:110]
	v_add_f64 v[109:110], v[127:128], v[117:118]
	v_fma_f64 v[127:128], v[36:37], s[0:1], v[149:150]
	v_fma_f64 v[38:39], v[38:39], s[26:27], v[175:176]
	;; [unrolled: 1-line block ×3, first 2 shown]
	v_add_f64 v[111:112], v[167:168], v[145:146]
	v_fma_f64 v[80:81], v[80:81], s[42:43], v[133:134]
	v_fma_f64 v[48:49], v[48:49], s[34:35], v[153:154]
	v_mul_f64 v[145:146], v[78:79], s[42:43]
	v_fma_f64 v[113:114], v[74:75], s[16:17], v[113:114]
	v_add_f64 v[16:17], v[50:51], v[16:17]
	v_mul_f64 v[50:51], v[78:79], s[28:29]
	v_add_f64 v[101:102], v[135:136], v[101:102]
	v_mul_f64 v[78:79], v[78:79], s[4:5]
	v_add_f64 v[92:93], v[92:93], v[141:142]
	v_fma_f64 v[121:122], v[72:73], s[8:9], v[121:122]
	v_fma_f64 v[133:134], v[72:73], s[42:43], v[82:83]
	;; [unrolled: 1-line block ×3, first 2 shown]
	v_mul_f64 v[153:154], v[68:69], s[14:15]
	v_mul_f64 v[143:144], v[70:71], s[30:31]
	;; [unrolled: 1-line block ×3, first 2 shown]
	v_add_f64 v[115:116], v[115:116], v[137:138]
	v_mul_f64 v[151:152], v[70:71], s[6:7]
	v_mul_f64 v[117:118], v[70:71], s[16:17]
	v_add_f64 v[14:15], v[127:128], v[14:15]
	v_add_f64 v[2:3], v[38:39], v[2:3]
	;; [unrolled: 1-line block ×3, first 2 shown]
	v_mul_f64 v[127:128], v[76:77], s[16:17]
	v_add_f64 v[111:112], v[139:140], v[111:112]
	v_mul_f64 v[139:140], v[76:77], s[34:35]
	v_mul_f64 v[76:77], v[76:77], s[0:1]
	v_fma_f64 v[38:39], v[74:75], s[34:35], v[84:85]
	v_fma_f64 v[84:85], v[74:75], s[34:35], -v[84:85]
	v_fma_f64 v[141:142], v[46:47], s[34:35], -v[145:146]
	v_add_f64 v[40:41], v[40:41], v[101:102]
	v_fma_f64 v[101:102], v[72:73], s[28:29], v[161:162]
	v_add_f64 v[92:93], v[119:120], v[92:93]
	v_fma_f64 v[72:73], v[72:73], s[38:39], v[129:130]
	v_fma_f64 v[119:120], v[46:47], s[16:17], -v[50:51]
	v_mul_f64 v[36:37], v[68:69], s[22:23]
	v_mul_f64 v[125:126], v[68:69], s[28:29]
	v_add_f64 v[12:13], v[133:134], v[12:13]
	v_add_f64 v[82:83], v[82:83], v[88:89]
	;; [unrolled: 1-line block ×3, first 2 shown]
	v_fma_f64 v[88:89], v[46:47], s[34:35], v[145:146]
	v_mul_f64 v[68:69], v[68:69], s[26:27]
	v_add_f64 v[14:15], v[30:31], v[14:15]
	v_fma_f64 v[30:31], v[74:75], s[6:7], v[123:124]
	v_add_f64 v[2:3], v[80:81], v[2:3]
	v_fma_f64 v[74:75], v[74:75], s[30:31], v[131:132]
	;; [unrolled: 2-line block ×3, first 2 shown]
	v_mul_f64 v[123:124], v[70:71], s[0:1]
	v_fma_f64 v[135:136], v[66:67], s[42:43], v[139:140]
	v_fma_f64 v[133:134], v[66:67], s[14:15], v[76:77]
	v_add_f64 v[38:39], v[38:39], v[111:112]
	v_fma_f64 v[111:112], v[46:47], s[0:1], v[78:79]
	v_fma_f64 v[76:77], v[66:67], s[4:5], v[76:77]
	v_add_f64 v[16:17], v[84:85], v[16:17]
	v_fma_f64 v[48:49], v[46:47], s[0:1], -v[78:79]
	v_add_f64 v[40:41], v[101:102], v[40:41]
	v_fma_f64 v[80:81], v[66:67], s[36:37], v[139:140]
	v_add_f64 v[84:85], v[113:114], v[92:93]
	v_mul_f64 v[70:71], v[70:71], s[20:21]
	v_fma_f64 v[78:79], v[66:67], s[26:27], v[157:158]
	v_add_f64 v[34:35], v[121:122], v[34:35]
	v_fma_f64 v[66:67], v[66:67], s[18:19], v[127:128]
	v_fma_f64 v[28:29], v[64:65], s[34:35], -v[28:29]
	v_fma_f64 v[90:91], v[62:63], s[38:39], v[143:144]
	v_add_f64 v[14:15], v[30:31], v[14:15]
	v_fma_f64 v[30:31], v[46:47], s[20:21], v[159:160]
	v_add_f64 v[2:3], v[72:73], v[2:3]
	;; [unrolled: 2-line block ×3, first 2 shown]
	v_add_f64 v[94:95], v[115:116], v[94:95]
	v_add_f64 v[72:73], v[119:120], v[109:110]
	v_fma_f64 v[50:51], v[62:63], s[14:15], v[123:124]
	v_fma_f64 v[74:75], v[64:65], s[0:1], -v[153:154]
	v_fma_f64 v[147:148], v[64:65], s[30:31], v[44:45]
	v_add_f64 v[92:93], v[135:136], v[107:108]
	v_add_f64 v[86:87], v[141:142], v[86:87]
	v_fma_f64 v[101:102], v[62:63], s[22:23], v[151:152]
	v_fma_f64 v[107:108], v[64:65], s[6:7], -v[36:37]
	v_fma_f64 v[143:144], v[62:63], s[40:41], v[143:144]
	v_fma_f64 v[137:138], v[62:63], s[28:29], v[117:118]
	v_fma_f64 v[149:150], v[64:65], s[16:17], -v[125:126]
	v_add_f64 v[111:112], v[111:112], v[38:39]
	v_add_f64 v[38:39], v[76:77], v[82:83]
	;; [unrolled: 1-line block ×5, first 2 shown]
	v_fma_f64 v[40:41], v[62:63], s[26:27], v[70:71]
	v_fma_f64 v[88:89], v[64:65], s[20:21], -v[68:69]
	v_fma_f64 v[44:45], v[64:65], s[30:31], -v[44:45]
	v_fma_f64 v[32:33], v[62:63], s[42:43], v[32:33]
	v_add_f64 v[109:110], v[133:134], v[12:13]
	v_add_f64 v[76:77], v[78:79], v[34:35]
	v_fma_f64 v[34:35], v[62:63], s[24:25], v[70:71]
	v_fma_f64 v[68:69], v[64:65], s[20:21], v[68:69]
	v_add_f64 v[78:79], v[30:31], v[14:15]
	v_fma_f64 v[70:71], v[62:63], s[18:19], v[117:118]
	v_fma_f64 v[113:114], v[64:65], s[16:17], v[125:126]
	;; [unrolled: 1-line block ×5, first 2 shown]
	v_add_f64 v[66:67], v[66:67], v[2:3]
	v_fma_f64 v[64:65], v[64:65], s[0:1], v[153:154]
	v_add_f64 v[117:118], v[46:47], v[0:1]
	v_add_f64 v[0:1], v[28:29], v[18:19]
	;; [unrolled: 1-line block ×23, first 2 shown]
	v_mul_u32_u24_e32 v62, 0xc0, v56
	v_add3_u32 v62, v100, v62, v96
	ds_write_b128 v62, v[4:7]
	ds_write_b128 v62, v[28:31] offset:16
	ds_write_b128 v62, v[24:27] offset:32
	;; [unrolled: 1-line block ×12, first 2 shown]
.LBB0_21:
	s_or_b32 exec_lo, exec_lo, s33
	v_add_nc_u32_e32 v0, -13, v56
	v_cmp_gt_u32_e64 s0, 13, v56
	v_mov_b32_e32 v2, v57
	s_waitcnt lgkmcnt(0)
	s_barrier
	buffer_gl0_inv
	v_cndmask_b32_e64 v0, v0, v56, s0
	s_mov_b32 s9, 0xbfee6f0e
	s_mov_b32 s4, 0x4755a5e
	;; [unrolled: 1-line block ×4, first 2 shown]
	v_mul_i32_i24_e32 v1, 9, v0
	s_mov_b32 s14, s4
	s_mov_b32 s6, 0x372fe950
	;; [unrolled: 1-line block ×4, first 2 shown]
	v_lshlrev_b64 v[1:2], 4, v[1:2]
	s_mov_b32 s17, 0x3fe9e377
	v_add_co_u32 v33, s0, s12, v1
	v_add_co_ci_u32_e64 v34, s0, s13, v2, s0
	s_mov_b32 s0, 0x134454ff
	s_mov_b32 s1, 0x3fee6f0e
	s_clause 0x8
	global_load_dwordx4 v[1:4], v[33:34], off offset:32
	global_load_dwordx4 v[5:8], v[33:34], off offset:64
	;; [unrolled: 1-line block ×4, first 2 shown]
	global_load_dwordx4 v[17:20], v[33:34], off
	global_load_dwordx4 v[21:24], v[33:34], off offset:16
	global_load_dwordx4 v[25:28], v[33:34], off offset:48
	;; [unrolled: 1-line block ×4, first 2 shown]
	ds_read_b128 v[37:40], v99 offset:1248
	ds_read_b128 v[41:44], v99 offset:2080
	ds_read_b128 v[45:48], v99 offset:2912
	ds_read_b128 v[62:65], v99 offset:3744
	ds_read_b128 v[66:69], v99 offset:416
	ds_read_b128 v[70:73], v99 offset:832
	ds_read_b128 v[74:77], v99 offset:1664
	ds_read_b128 v[78:81], v99 offset:2496
	ds_read_b128 v[82:85], v99 offset:3328
	s_mov_b32 s8, s0
	s_waitcnt vmcnt(8) lgkmcnt(8)
	v_mul_f64 v[49:50], v[39:40], v[3:4]
	v_mul_f64 v[3:4], v[37:38], v[3:4]
	s_waitcnt vmcnt(7) lgkmcnt(7)
	v_mul_f64 v[86:87], v[43:44], v[7:8]
	v_mul_f64 v[7:8], v[41:42], v[7:8]
	;; [unrolled: 3-line block ×8, first 2 shown]
	s_waitcnt vmcnt(0) lgkmcnt(0)
	v_mul_f64 v[105:106], v[82:83], v[35:36]
	v_fma_f64 v[37:38], v[37:38], v[1:2], -v[49:50]
	v_fma_f64 v[39:40], v[39:40], v[1:2], v[3:4]
	v_fma_f64 v[41:42], v[41:42], v[5:6], -v[86:87]
	v_fma_f64 v[5:6], v[43:44], v[5:6], v[7:8]
	v_fma_f64 v[7:8], v[45:46], v[9:10], -v[88:89]
	v_fma_f64 v[9:10], v[47:48], v[9:10], v[11:12]
	v_fma_f64 v[11:12], v[64:65], v[13:14], v[90:91]
	v_fma_f64 v[13:14], v[62:63], v[13:14], -v[15:16]
	v_mul_f64 v[15:16], v[84:85], v[35:36]
	v_fma_f64 v[43:44], v[66:67], v[17:18], -v[92:93]
	v_fma_f64 v[17:18], v[68:69], v[17:18], v[19:20]
	v_fma_f64 v[35:36], v[70:71], v[21:22], -v[94:95]
	v_fma_f64 v[21:22], v[72:73], v[21:22], v[23:24]
	;; [unrolled: 2-line block ×4, first 2 shown]
	v_fma_f64 v[31:32], v[84:85], v[33:34], v[105:106]
	ds_read_b128 v[1:4], v98
	s_waitcnt lgkmcnt(0)
	s_barrier
	buffer_gl0_inv
	v_add_f64 v[94:95], v[37:38], -v[41:42]
	v_add_f64 v[103:104], v[41:42], -v[37:38]
	v_add_f64 v[19:20], v[41:42], v[7:8]
	v_add_f64 v[45:46], v[5:6], v[9:10]
	;; [unrolled: 1-line block ×4, first 2 shown]
	v_fma_f64 v[15:16], v[82:83], v[33:34], -v[15:16]
	v_add_f64 v[68:69], v[39:40], -v[11:12]
	v_add_f64 v[70:71], v[5:6], -v[9:10]
	;; [unrolled: 1-line block ×6, first 2 shown]
	v_add_f64 v[62:63], v[23:24], v[27:28]
	v_add_f64 v[88:89], v[25:26], v[29:30]
	;; [unrolled: 1-line block ×3, first 2 shown]
	v_add_f64 v[107:108], v[39:40], -v[5:6]
	v_add_f64 v[109:110], v[11:12], -v[9:10]
	;; [unrolled: 1-line block ×4, first 2 shown]
	v_add_f64 v[33:34], v[1:2], v[35:36]
	v_add_f64 v[86:87], v[3:4], v[21:22]
	;; [unrolled: 1-line block ×3, first 2 shown]
	v_add_f64 v[64:65], v[21:22], -v[31:32]
	v_fma_f64 v[19:20], v[19:20], -0.5, v[43:44]
	v_fma_f64 v[45:46], v[45:46], -0.5, v[17:18]
	;; [unrolled: 1-line block ×4, first 2 shown]
	v_add_f64 v[80:81], v[35:36], v[15:16]
	v_add_f64 v[17:18], v[17:18], v[39:40]
	v_add_f64 v[66:67], v[25:26], -v[29:30]
	v_add_f64 v[76:77], v[35:36], -v[23:24]
	v_add_f64 v[78:79], v[15:16], -v[27:28]
	v_add_f64 v[82:83], v[23:24], -v[35:36]
	v_add_f64 v[35:36], v[35:36], -v[15:16]
	v_add_f64 v[90:91], v[23:24], -v[27:28]
	v_fma_f64 v[39:40], v[62:63], -0.5, v[1:2]
	v_fma_f64 v[43:44], v[88:89], -0.5, v[3:4]
	;; [unrolled: 1-line block ×3, first 2 shown]
	v_add_f64 v[62:63], v[94:95], v[101:102]
	v_add_f64 v[88:89], v[107:108], v[109:110]
	;; [unrolled: 1-line block ×3, first 2 shown]
	v_add_f64 v[84:85], v[27:28], -v[15:16]
	v_add_f64 v[123:124], v[21:22], -v[25:26]
	;; [unrolled: 1-line block ×3, first 2 shown]
	v_add_f64 v[23:24], v[33:34], v[23:24]
	v_fma_f64 v[121:122], v[68:69], s[8:9], v[19:20]
	v_fma_f64 v[115:116], v[72:73], s[8:9], v[45:46]
	;; [unrolled: 1-line block ×8, first 2 shown]
	v_fma_f64 v[1:2], v[80:81], -0.5, v[1:2]
	v_add_f64 v[80:81], v[103:104], v[105:106]
	v_add_f64 v[25:26], v[86:87], v[25:26]
	;; [unrolled: 1-line block ×4, first 2 shown]
	v_add_f64 v[125:126], v[31:32], -v[29:30]
	v_add_f64 v[33:34], v[76:77], v[78:79]
	v_fma_f64 v[17:18], v[64:65], s[0:1], v[39:40]
	v_fma_f64 v[39:40], v[64:65], s[8:9], v[39:40]
	v_add_f64 v[127:128], v[29:30], -v[31:32]
	v_add_f64 v[23:24], v[23:24], v[27:28]
	v_fma_f64 v[105:106], v[70:71], s[14:15], v[121:122]
	v_fma_f64 v[94:95], v[74:75], s[14:15], v[115:116]
	;; [unrolled: 1-line block ×14, first 2 shown]
	v_add_f64 v[68:69], v[82:83], v[84:85]
	v_add_f64 v[25:26], v[25:26], v[29:30]
	;; [unrolled: 1-line block ×4, first 2 shown]
	v_fma_f64 v[9:10], v[66:67], s[4:5], v[17:18]
	v_fma_f64 v[17:18], v[66:67], s[14:15], v[39:40]
	v_add_f64 v[21:22], v[21:22], v[127:128]
	v_add_f64 v[15:16], v[23:24], v[15:16]
	v_fma_f64 v[82:83], v[62:63], s[6:7], v[105:106]
	v_fma_f64 v[74:75], v[88:89], s[6:7], v[94:95]
	;; [unrolled: 1-line block ×8, first 2 shown]
	v_add_f64 v[62:63], v[123:124], v[125:126]
	v_fma_f64 v[27:28], v[64:65], s[4:5], v[41:42]
	v_fma_f64 v[1:2], v[64:65], s[14:15], v[1:2]
	;; [unrolled: 1-line block ×6, first 2 shown]
	v_add_f64 v[23:24], v[25:26], v[31:32]
	v_add_f64 v[7:8], v[7:8], v[13:14]
	;; [unrolled: 1-line block ×3, first 2 shown]
	v_fma_f64 v[25:26], v[33:34], s[6:7], v[9:10]
	v_fma_f64 v[84:85], v[33:34], s[6:7], v[17:18]
	v_mul_f64 v[64:65], v[82:83], s[16:17]
	v_mul_f64 v[35:36], v[74:75], s[4:5]
	;; [unrolled: 1-line block ×8, first 2 shown]
	v_fma_f64 v[27:28], v[68:69], s[6:7], v[27:28]
	v_fma_f64 v[31:32], v[68:69], s[6:7], v[1:2]
	;; [unrolled: 1-line block ×6, first 2 shown]
	v_add_f64 v[4:5], v[15:16], -v[7:8]
	v_add_f64 v[2:3], v[23:24], v[11:12]
	v_fma_f64 v[29:30], v[19:20], s[16:17], v[35:36]
	v_fma_f64 v[33:34], v[49:50], s[6:7], v[41:42]
	v_fma_f64 v[35:36], v[47:48], s[0:1], -v[43:44]
	v_fma_f64 v[42:43], v[74:75], s[16:17], v[66:67]
	v_fma_f64 v[40:41], v[45:46], s[4:5], -v[64:65]
	;; [unrolled: 2-line block ×3, first 2 shown]
	v_fma_f64 v[48:49], v[82:83], s[14:15], -v[80:81]
	v_cmp_lt_u32_e64 s0, 12, v56
	v_cndmask_b32_e64 v1, 0, 0x820, s0
	v_add_co_u32 v50, s0, s12, v58
	v_lshlrev_b32_e32 v58, 4, v0
	v_add_co_ci_u32_e64 v51, s0, s13, v59, s0
	v_add_nc_u32_e32 v57, 0, v1
	v_add_f64 v[0:1], v[15:16], v[7:8]
	v_add_f64 v[6:7], v[23:24], -v[11:12]
	v_add_f64 v[8:9], v[25:26], v[29:30]
	v_add_f64 v[12:13], v[27:28], v[33:34]
	;; [unrolled: 1-line block ×8, first 2 shown]
	v_add_f64 v[24:25], v[25:26], -v[29:30]
	v_add_f64 v[28:29], v[27:28], -v[33:34]
	;; [unrolled: 1-line block ×8, first 2 shown]
	v_add_co_u32 v40, s0, s12, v60
	v_add_co_ci_u32_e64 v41, s0, s13, v61, s0
	v_add3_u32 v42, v57, v58, v96
	v_add_co_u32 v40, s0, 0x800, v40
	v_add_co_ci_u32_e64 v41, s0, 0, v41, s0
	ds_write_b128 v42, v[0:3]
	ds_write_b128 v42, v[4:7] offset:1040
	ds_write_b128 v42, v[8:11] offset:208
	;; [unrolled: 1-line block ×9, first 2 shown]
	s_waitcnt lgkmcnt(0)
	s_barrier
	buffer_gl0_inv
	s_clause 0x4
	global_load_dwordx4 v[0:3], v[50:51], off offset:1872
	global_load_dwordx4 v[4:7], v[40:41], off offset:240
	;; [unrolled: 1-line block ×5, first 2 shown]
	ds_read_b128 v[20:23], v99 offset:2080
	ds_read_b128 v[24:27], v99 offset:2496
	;; [unrolled: 1-line block ×6, first 2 shown]
	ds_read_b128 v[44:47], v98
	ds_read_b128 v[48:51], v99 offset:416
	ds_read_b128 v[57:60], v99 offset:832
	;; [unrolled: 1-line block ×3, first 2 shown]
	s_waitcnt vmcnt(0) lgkmcnt(0)
	s_barrier
	buffer_gl0_inv
	v_mul_f64 v[65:66], v[22:23], v[2:3]
	v_mul_f64 v[2:3], v[20:21], v[2:3]
	;; [unrolled: 1-line block ×10, first 2 shown]
	v_fma_f64 v[20:21], v[20:21], v[0:1], -v[65:66]
	v_fma_f64 v[2:3], v[22:23], v[0:1], v[2:3]
	v_fma_f64 v[22:23], v[24:25], v[4:5], -v[67:68]
	v_fma_f64 v[6:7], v[26:27], v[4:5], v[6:7]
	;; [unrolled: 2-line block ×5, first 2 shown]
	v_add_f64 v[0:1], v[44:45], -v[20:21]
	v_add_f64 v[2:3], v[46:47], -v[2:3]
	;; [unrolled: 1-line block ×10, first 2 shown]
	v_fma_f64 v[20:21], v[44:45], 2.0, -v[0:1]
	v_fma_f64 v[22:23], v[46:47], 2.0, -v[2:3]
	;; [unrolled: 1-line block ×10, first 2 shown]
	v_add_nc_u32_e32 v40, v100, v96
	ds_write_b128 v99, v[0:3] offset:2080
	ds_write_b128 v40, v[4:7] offset:2496
	;; [unrolled: 1-line block ×5, first 2 shown]
	ds_write_b128 v99, v[20:23]
	ds_write_b128 v99, v[24:27] offset:416
	ds_write_b128 v99, v[28:31] offset:832
	;; [unrolled: 1-line block ×4, first 2 shown]
	s_waitcnt lgkmcnt(0)
	s_barrier
	buffer_gl0_inv
	s_and_saveexec_b32 s0, vcc_lo
	s_cbranch_execz .LBB0_23
; %bb.22:
	v_mul_lo_u32 v2, s3, v54
	v_mul_lo_u32 v3, s2, v55
	v_mad_u64_u32 v[0:1], null, s2, v54, 0
	v_mov_b32_e32 v57, 0
	v_lshl_add_u32 v30, v56, 4, v97
	v_lshlrev_b64 v[12:13], 4, v[52:53]
	v_add_nc_u32_e32 v14, 26, v56
	v_add_nc_u32_e32 v16, 52, v56
	v_mov_b32_e32 v15, v57
	v_add3_u32 v1, v1, v3, v2
	v_lshlrev_b64 v[18:19], 4, v[56:57]
	v_mov_b32_e32 v17, v57
	v_add_nc_u32_e32 v28, 0x68, v56
	v_mov_b32_e32 v29, v57
	v_lshlrev_b64 v[8:9], 4, v[0:1]
	ds_read_b128 v[0:3], v30
	ds_read_b128 v[4:7], v30 offset:416
	v_add_co_u32 v20, vcc_lo, s10, v8
	v_add_co_ci_u32_e32 v21, vcc_lo, s11, v9, vcc_lo
	ds_read_b128 v[8:11], v30 offset:832
	v_add_co_u32 v31, vcc_lo, v20, v12
	v_add_co_ci_u32_e32 v32, vcc_lo, v21, v13, vcc_lo
	v_lshlrev_b64 v[12:13], 4, v[14:15]
	v_add_co_u32 v20, vcc_lo, v31, v18
	v_lshlrev_b64 v[14:15], 4, v[16:17]
	v_add_nc_u32_e32 v16, 0x4e, v56
	v_add_co_ci_u32_e32 v21, vcc_lo, v32, v19, vcc_lo
	v_add_co_u32 v22, vcc_lo, v31, v12
	v_add_co_ci_u32_e32 v23, vcc_lo, v32, v13, vcc_lo
	v_lshlrev_b64 v[26:27], 4, v[16:17]
	ds_read_b128 v[16:19], v30 offset:1664
	v_add_co_u32 v24, vcc_lo, v31, v14
	v_add_co_ci_u32_e32 v25, vcc_lo, v32, v15, vcc_lo
	ds_read_b128 v[12:15], v30 offset:1248
	s_waitcnt lgkmcnt(4)
	global_store_dwordx4 v[20:21], v[0:3], off
	s_waitcnt lgkmcnt(3)
	global_store_dwordx4 v[22:23], v[4:7], off
	;; [unrolled: 2-line block ×3, first 2 shown]
	v_lshlrev_b64 v[0:1], 4, v[28:29]
	v_add_co_u32 v2, vcc_lo, v31, v26
	v_add_co_ci_u32_e32 v3, vcc_lo, v32, v27, vcc_lo
	v_add_nc_u32_e32 v4, 0x82, v56
	v_mov_b32_e32 v5, v57
	v_add_co_u32 v6, vcc_lo, v31, v0
	v_add_co_ci_u32_e32 v7, vcc_lo, v32, v1, vcc_lo
	v_add_nc_u32_e32 v8, 0x9c, v56
	v_mov_b32_e32 v9, v57
	v_lshlrev_b64 v[4:5], 4, v[4:5]
	s_waitcnt lgkmcnt(1)
	global_store_dwordx4 v[6:7], v[16:19], off
	v_add_nc_u32_e32 v24, 0xd0, v56
	v_mov_b32_e32 v25, v57
	v_lshlrev_b64 v[6:7], 4, v[8:9]
	s_waitcnt lgkmcnt(0)
	global_store_dwordx4 v[2:3], v[12:15], off
	v_add_co_u32 v20, vcc_lo, v31, v4
	v_add_nc_u32_e32 v12, 0xb6, v56
	v_mov_b32_e32 v13, v57
	v_add_co_ci_u32_e32 v21, vcc_lo, v32, v5, vcc_lo
	v_add_co_u32 v22, vcc_lo, v31, v6
	ds_read_b128 v[0:3], v30 offset:2080
	v_add_co_ci_u32_e32 v23, vcc_lo, v32, v7, vcc_lo
	ds_read_b128 v[4:7], v30 offset:2496
	ds_read_b128 v[8:11], v30 offset:2912
	v_lshlrev_b64 v[26:27], 4, v[12:13]
	ds_read_b128 v[12:15], v30 offset:3328
	ds_read_b128 v[16:19], v30 offset:3744
	v_add_nc_u32_e32 v56, 0xea, v56
	v_lshlrev_b64 v[24:25], 4, v[24:25]
	v_add_co_u32 v26, vcc_lo, v31, v26
	v_lshlrev_b64 v[28:29], 4, v[56:57]
	v_add_co_ci_u32_e32 v27, vcc_lo, v32, v27, vcc_lo
	v_add_co_u32 v24, vcc_lo, v31, v24
	v_add_co_ci_u32_e32 v25, vcc_lo, v32, v25, vcc_lo
	v_add_co_u32 v28, vcc_lo, v31, v28
	v_add_co_ci_u32_e32 v29, vcc_lo, v32, v29, vcc_lo
	s_waitcnt lgkmcnt(4)
	global_store_dwordx4 v[20:21], v[0:3], off
	s_waitcnt lgkmcnt(3)
	global_store_dwordx4 v[22:23], v[4:7], off
	;; [unrolled: 2-line block ×5, first 2 shown]
.LBB0_23:
	s_endpgm
	.section	.rodata,"a",@progbits
	.p2align	6, 0x0
	.amdhsa_kernel fft_rtc_fwd_len260_factors_13_10_2_wgs_52_tpt_26_dp_op_CI_CI_unitstride_sbrr_C2R_dirReg
		.amdhsa_group_segment_fixed_size 0
		.amdhsa_private_segment_fixed_size 0
		.amdhsa_kernarg_size 104
		.amdhsa_user_sgpr_count 6
		.amdhsa_user_sgpr_private_segment_buffer 1
		.amdhsa_user_sgpr_dispatch_ptr 0
		.amdhsa_user_sgpr_queue_ptr 0
		.amdhsa_user_sgpr_kernarg_segment_ptr 1
		.amdhsa_user_sgpr_dispatch_id 0
		.amdhsa_user_sgpr_flat_scratch_init 0
		.amdhsa_user_sgpr_private_segment_size 0
		.amdhsa_wavefront_size32 1
		.amdhsa_uses_dynamic_stack 0
		.amdhsa_system_sgpr_private_segment_wavefront_offset 0
		.amdhsa_system_sgpr_workgroup_id_x 1
		.amdhsa_system_sgpr_workgroup_id_y 0
		.amdhsa_system_sgpr_workgroup_id_z 0
		.amdhsa_system_sgpr_workgroup_info 0
		.amdhsa_system_vgpr_workitem_id 0
		.amdhsa_next_free_vgpr 199
		.amdhsa_next_free_sgpr 44
		.amdhsa_reserve_vcc 1
		.amdhsa_reserve_flat_scratch 0
		.amdhsa_float_round_mode_32 0
		.amdhsa_float_round_mode_16_64 0
		.amdhsa_float_denorm_mode_32 3
		.amdhsa_float_denorm_mode_16_64 3
		.amdhsa_dx10_clamp 1
		.amdhsa_ieee_mode 1
		.amdhsa_fp16_overflow 0
		.amdhsa_workgroup_processor_mode 1
		.amdhsa_memory_ordered 1
		.amdhsa_forward_progress 0
		.amdhsa_shared_vgpr_count 0
		.amdhsa_exception_fp_ieee_invalid_op 0
		.amdhsa_exception_fp_denorm_src 0
		.amdhsa_exception_fp_ieee_div_zero 0
		.amdhsa_exception_fp_ieee_overflow 0
		.amdhsa_exception_fp_ieee_underflow 0
		.amdhsa_exception_fp_ieee_inexact 0
		.amdhsa_exception_int_div_zero 0
	.end_amdhsa_kernel
	.text
.Lfunc_end0:
	.size	fft_rtc_fwd_len260_factors_13_10_2_wgs_52_tpt_26_dp_op_CI_CI_unitstride_sbrr_C2R_dirReg, .Lfunc_end0-fft_rtc_fwd_len260_factors_13_10_2_wgs_52_tpt_26_dp_op_CI_CI_unitstride_sbrr_C2R_dirReg
                                        ; -- End function
	.section	.AMDGPU.csdata,"",@progbits
; Kernel info:
; codeLenInByte = 9596
; NumSgprs: 46
; NumVgprs: 199
; ScratchSize: 0
; MemoryBound: 0
; FloatMode: 240
; IeeeMode: 1
; LDSByteSize: 0 bytes/workgroup (compile time only)
; SGPRBlocks: 5
; VGPRBlocks: 24
; NumSGPRsForWavesPerEU: 46
; NumVGPRsForWavesPerEU: 199
; Occupancy: 4
; WaveLimiterHint : 1
; COMPUTE_PGM_RSRC2:SCRATCH_EN: 0
; COMPUTE_PGM_RSRC2:USER_SGPR: 6
; COMPUTE_PGM_RSRC2:TRAP_HANDLER: 0
; COMPUTE_PGM_RSRC2:TGID_X_EN: 1
; COMPUTE_PGM_RSRC2:TGID_Y_EN: 0
; COMPUTE_PGM_RSRC2:TGID_Z_EN: 0
; COMPUTE_PGM_RSRC2:TIDIG_COMP_CNT: 0
	.text
	.p2alignl 6, 3214868480
	.fill 48, 4, 3214868480
	.type	__hip_cuid_691f49316ea1d34,@object ; @__hip_cuid_691f49316ea1d34
	.section	.bss,"aw",@nobits
	.globl	__hip_cuid_691f49316ea1d34
__hip_cuid_691f49316ea1d34:
	.byte	0                               ; 0x0
	.size	__hip_cuid_691f49316ea1d34, 1

	.ident	"AMD clang version 19.0.0git (https://github.com/RadeonOpenCompute/llvm-project roc-6.4.0 25133 c7fe45cf4b819c5991fe208aaa96edf142730f1d)"
	.section	".note.GNU-stack","",@progbits
	.addrsig
	.addrsig_sym __hip_cuid_691f49316ea1d34
	.amdgpu_metadata
---
amdhsa.kernels:
  - .args:
      - .actual_access:  read_only
        .address_space:  global
        .offset:         0
        .size:           8
        .value_kind:     global_buffer
      - .offset:         8
        .size:           8
        .value_kind:     by_value
      - .actual_access:  read_only
        .address_space:  global
        .offset:         16
        .size:           8
        .value_kind:     global_buffer
      - .actual_access:  read_only
        .address_space:  global
        .offset:         24
        .size:           8
        .value_kind:     global_buffer
      - .actual_access:  read_only
        .address_space:  global
        .offset:         32
        .size:           8
        .value_kind:     global_buffer
      - .offset:         40
        .size:           8
        .value_kind:     by_value
      - .actual_access:  read_only
        .address_space:  global
        .offset:         48
        .size:           8
        .value_kind:     global_buffer
      - .actual_access:  read_only
        .address_space:  global
        .offset:         56
        .size:           8
        .value_kind:     global_buffer
      - .offset:         64
        .size:           4
        .value_kind:     by_value
      - .actual_access:  read_only
        .address_space:  global
        .offset:         72
        .size:           8
        .value_kind:     global_buffer
      - .actual_access:  read_only
        .address_space:  global
        .offset:         80
        .size:           8
        .value_kind:     global_buffer
      - .actual_access:  read_only
        .address_space:  global
        .offset:         88
        .size:           8
        .value_kind:     global_buffer
      - .actual_access:  write_only
        .address_space:  global
        .offset:         96
        .size:           8
        .value_kind:     global_buffer
    .group_segment_fixed_size: 0
    .kernarg_segment_align: 8
    .kernarg_segment_size: 104
    .language:       OpenCL C
    .language_version:
      - 2
      - 0
    .max_flat_workgroup_size: 52
    .name:           fft_rtc_fwd_len260_factors_13_10_2_wgs_52_tpt_26_dp_op_CI_CI_unitstride_sbrr_C2R_dirReg
    .private_segment_fixed_size: 0
    .sgpr_count:     46
    .sgpr_spill_count: 0
    .symbol:         fft_rtc_fwd_len260_factors_13_10_2_wgs_52_tpt_26_dp_op_CI_CI_unitstride_sbrr_C2R_dirReg.kd
    .uniform_work_group_size: 1
    .uses_dynamic_stack: false
    .vgpr_count:     199
    .vgpr_spill_count: 0
    .wavefront_size: 32
    .workgroup_processor_mode: 1
amdhsa.target:   amdgcn-amd-amdhsa--gfx1030
amdhsa.version:
  - 1
  - 2
...

	.end_amdgpu_metadata
